;; amdgpu-corpus repo=ROCm/rocFFT kind=compiled arch=gfx906 opt=O3
	.text
	.amdgcn_target "amdgcn-amd-amdhsa--gfx906"
	.amdhsa_code_object_version 6
	.protected	fft_rtc_back_len416_factors_13_2_16_wgs_64_tpt_32_dp_ip_CI_unitstride_sbrr_dirReg ; -- Begin function fft_rtc_back_len416_factors_13_2_16_wgs_64_tpt_32_dp_ip_CI_unitstride_sbrr_dirReg
	.globl	fft_rtc_back_len416_factors_13_2_16_wgs_64_tpt_32_dp_ip_CI_unitstride_sbrr_dirReg
	.p2align	8
	.type	fft_rtc_back_len416_factors_13_2_16_wgs_64_tpt_32_dp_ip_CI_unitstride_sbrr_dirReg,@function
fft_rtc_back_len416_factors_13_2_16_wgs_64_tpt_32_dp_ip_CI_unitstride_sbrr_dirReg: ; @fft_rtc_back_len416_factors_13_2_16_wgs_64_tpt_32_dp_ip_CI_unitstride_sbrr_dirReg
; %bb.0:
	s_load_dwordx2 s[2:3], s[4:5], 0x50
	s_load_dwordx4 s[8:11], s[4:5], 0x0
	s_load_dwordx2 s[12:13], s[4:5], 0x18
	v_lshrrev_b32_e32 v1, 5, v0
	v_lshl_or_b32 v5, s6, 1, v1
	v_mov_b32_e32 v3, 0
	s_waitcnt lgkmcnt(0)
	v_cmp_lt_u64_e64 s[0:1], s[10:11], 2
	v_mov_b32_e32 v1, 0
	v_mov_b32_e32 v6, v3
	s_and_b64 vcc, exec, s[0:1]
	v_mov_b32_e32 v2, 0
	s_cbranch_vccnz .LBB0_8
; %bb.1:
	s_load_dwordx2 s[0:1], s[4:5], 0x10
	s_add_u32 s6, s12, 8
	s_addc_u32 s7, s13, 0
	v_mov_b32_e32 v1, 0
	v_mov_b32_e32 v2, 0
	s_waitcnt lgkmcnt(0)
	s_add_u32 s14, s0, 8
	s_addc_u32 s15, s1, 0
	s_mov_b64 s[16:17], 1
.LBB0_2:                                ; =>This Inner Loop Header: Depth=1
	s_load_dwordx2 s[18:19], s[14:15], 0x0
                                        ; implicit-def: $vgpr7_vgpr8
	s_waitcnt lgkmcnt(0)
	v_or_b32_e32 v4, s19, v6
	v_cmp_ne_u64_e32 vcc, 0, v[3:4]
	s_and_saveexec_b64 s[0:1], vcc
	s_xor_b64 s[20:21], exec, s[0:1]
	s_cbranch_execz .LBB0_4
; %bb.3:                                ;   in Loop: Header=BB0_2 Depth=1
	v_cvt_f32_u32_e32 v4, s18
	v_cvt_f32_u32_e32 v7, s19
	s_sub_u32 s0, 0, s18
	s_subb_u32 s1, 0, s19
	v_mac_f32_e32 v4, 0x4f800000, v7
	v_rcp_f32_e32 v4, v4
	v_mul_f32_e32 v4, 0x5f7ffffc, v4
	v_mul_f32_e32 v7, 0x2f800000, v4
	v_trunc_f32_e32 v7, v7
	v_mac_f32_e32 v4, 0xcf800000, v7
	v_cvt_u32_f32_e32 v7, v7
	v_cvt_u32_f32_e32 v4, v4
	v_mul_lo_u32 v8, s0, v7
	v_mul_hi_u32 v9, s0, v4
	v_mul_lo_u32 v11, s1, v4
	v_mul_lo_u32 v10, s0, v4
	v_add_u32_e32 v8, v9, v8
	v_add_u32_e32 v8, v8, v11
	v_mul_hi_u32 v9, v4, v10
	v_mul_lo_u32 v11, v4, v8
	v_mul_hi_u32 v13, v4, v8
	v_mul_hi_u32 v12, v7, v10
	v_mul_lo_u32 v10, v7, v10
	v_mul_hi_u32 v14, v7, v8
	v_add_co_u32_e32 v9, vcc, v9, v11
	v_addc_co_u32_e32 v11, vcc, 0, v13, vcc
	v_mul_lo_u32 v8, v7, v8
	v_add_co_u32_e32 v9, vcc, v9, v10
	v_addc_co_u32_e32 v9, vcc, v11, v12, vcc
	v_addc_co_u32_e32 v10, vcc, 0, v14, vcc
	v_add_co_u32_e32 v8, vcc, v9, v8
	v_addc_co_u32_e32 v9, vcc, 0, v10, vcc
	v_add_co_u32_e32 v4, vcc, v4, v8
	v_addc_co_u32_e32 v7, vcc, v7, v9, vcc
	v_mul_lo_u32 v8, s0, v7
	v_mul_hi_u32 v9, s0, v4
	v_mul_lo_u32 v10, s1, v4
	v_mul_lo_u32 v11, s0, v4
	v_add_u32_e32 v8, v9, v8
	v_add_u32_e32 v8, v8, v10
	v_mul_lo_u32 v12, v4, v8
	v_mul_hi_u32 v13, v4, v11
	v_mul_hi_u32 v14, v4, v8
	;; [unrolled: 1-line block ×3, first 2 shown]
	v_mul_lo_u32 v11, v7, v11
	v_mul_hi_u32 v9, v7, v8
	v_add_co_u32_e32 v12, vcc, v13, v12
	v_addc_co_u32_e32 v13, vcc, 0, v14, vcc
	v_mul_lo_u32 v8, v7, v8
	v_add_co_u32_e32 v11, vcc, v12, v11
	v_addc_co_u32_e32 v10, vcc, v13, v10, vcc
	v_addc_co_u32_e32 v9, vcc, 0, v9, vcc
	v_add_co_u32_e32 v8, vcc, v10, v8
	v_addc_co_u32_e32 v9, vcc, 0, v9, vcc
	v_add_co_u32_e32 v4, vcc, v4, v8
	v_addc_co_u32_e32 v9, vcc, v7, v9, vcc
	v_mad_u64_u32 v[7:8], s[0:1], v5, v9, 0
	v_mul_hi_u32 v10, v5, v4
	v_add_co_u32_e32 v11, vcc, v10, v7
	v_addc_co_u32_e32 v12, vcc, 0, v8, vcc
	v_mad_u64_u32 v[7:8], s[0:1], v6, v4, 0
	v_mad_u64_u32 v[9:10], s[0:1], v6, v9, 0
	v_add_co_u32_e32 v4, vcc, v11, v7
	v_addc_co_u32_e32 v4, vcc, v12, v8, vcc
	v_addc_co_u32_e32 v7, vcc, 0, v10, vcc
	v_add_co_u32_e32 v4, vcc, v4, v9
	v_addc_co_u32_e32 v9, vcc, 0, v7, vcc
	v_mul_lo_u32 v10, s19, v4
	v_mul_lo_u32 v11, s18, v9
	v_mad_u64_u32 v[7:8], s[0:1], s18, v4, 0
	v_add3_u32 v8, v8, v11, v10
	v_sub_u32_e32 v10, v6, v8
	v_mov_b32_e32 v11, s19
	v_sub_co_u32_e32 v7, vcc, v5, v7
	v_subb_co_u32_e64 v10, s[0:1], v10, v11, vcc
	v_subrev_co_u32_e64 v11, s[0:1], s18, v7
	v_subbrev_co_u32_e64 v10, s[0:1], 0, v10, s[0:1]
	v_cmp_le_u32_e64 s[0:1], s19, v10
	v_cndmask_b32_e64 v12, 0, -1, s[0:1]
	v_cmp_le_u32_e64 s[0:1], s18, v11
	v_cndmask_b32_e64 v11, 0, -1, s[0:1]
	v_cmp_eq_u32_e64 s[0:1], s19, v10
	v_cndmask_b32_e64 v10, v12, v11, s[0:1]
	v_add_co_u32_e64 v11, s[0:1], 2, v4
	v_addc_co_u32_e64 v12, s[0:1], 0, v9, s[0:1]
	v_add_co_u32_e64 v13, s[0:1], 1, v4
	v_addc_co_u32_e64 v14, s[0:1], 0, v9, s[0:1]
	v_subb_co_u32_e32 v8, vcc, v6, v8, vcc
	v_cmp_ne_u32_e64 s[0:1], 0, v10
	v_cmp_le_u32_e32 vcc, s19, v8
	v_cndmask_b32_e64 v10, v14, v12, s[0:1]
	v_cndmask_b32_e64 v12, 0, -1, vcc
	v_cmp_le_u32_e32 vcc, s18, v7
	v_cndmask_b32_e64 v7, 0, -1, vcc
	v_cmp_eq_u32_e32 vcc, s19, v8
	v_cndmask_b32_e32 v7, v12, v7, vcc
	v_cmp_ne_u32_e32 vcc, 0, v7
	v_cndmask_b32_e64 v7, v13, v11, s[0:1]
	v_cndmask_b32_e32 v8, v9, v10, vcc
	v_cndmask_b32_e32 v7, v4, v7, vcc
.LBB0_4:                                ;   in Loop: Header=BB0_2 Depth=1
	s_andn2_saveexec_b64 s[0:1], s[20:21]
	s_cbranch_execz .LBB0_6
; %bb.5:                                ;   in Loop: Header=BB0_2 Depth=1
	v_cvt_f32_u32_e32 v4, s18
	s_sub_i32 s20, 0, s18
	v_rcp_iflag_f32_e32 v4, v4
	v_mul_f32_e32 v4, 0x4f7ffffe, v4
	v_cvt_u32_f32_e32 v4, v4
	v_mul_lo_u32 v7, s20, v4
	v_mul_hi_u32 v7, v4, v7
	v_add_u32_e32 v4, v4, v7
	v_mul_hi_u32 v4, v5, v4
	v_mul_lo_u32 v7, v4, s18
	v_add_u32_e32 v8, 1, v4
	v_sub_u32_e32 v7, v5, v7
	v_subrev_u32_e32 v9, s18, v7
	v_cmp_le_u32_e32 vcc, s18, v7
	v_cndmask_b32_e32 v7, v7, v9, vcc
	v_cndmask_b32_e32 v4, v4, v8, vcc
	v_add_u32_e32 v8, 1, v4
	v_cmp_le_u32_e32 vcc, s18, v7
	v_cndmask_b32_e32 v7, v4, v8, vcc
	v_mov_b32_e32 v8, v3
.LBB0_6:                                ;   in Loop: Header=BB0_2 Depth=1
	s_or_b64 exec, exec, s[0:1]
	v_mul_lo_u32 v4, v8, s18
	v_mul_lo_u32 v11, v7, s19
	v_mad_u64_u32 v[9:10], s[0:1], v7, s18, 0
	s_load_dwordx2 s[0:1], s[6:7], 0x0
	s_add_u32 s16, s16, 1
	v_add3_u32 v4, v10, v11, v4
	v_sub_co_u32_e32 v5, vcc, v5, v9
	v_subb_co_u32_e32 v4, vcc, v6, v4, vcc
	s_waitcnt lgkmcnt(0)
	v_mul_lo_u32 v4, s0, v4
	v_mul_lo_u32 v6, s1, v5
	v_mad_u64_u32 v[1:2], s[0:1], s0, v5, v[1:2]
	s_addc_u32 s17, s17, 0
	s_add_u32 s6, s6, 8
	v_add3_u32 v2, v6, v2, v4
	v_mov_b32_e32 v4, s10
	v_mov_b32_e32 v5, s11
	s_addc_u32 s7, s7, 0
	v_cmp_ge_u64_e32 vcc, s[16:17], v[4:5]
	s_add_u32 s14, s14, 8
	s_addc_u32 s15, s15, 0
	s_cbranch_vccnz .LBB0_9
; %bb.7:                                ;   in Loop: Header=BB0_2 Depth=1
	v_mov_b32_e32 v5, v7
	v_mov_b32_e32 v6, v8
	s_branch .LBB0_2
.LBB0_8:
	v_mov_b32_e32 v8, v6
	v_mov_b32_e32 v7, v5
.LBB0_9:
	s_lshl_b64 s[0:1], s[10:11], 3
	s_add_u32 s0, s12, s0
	s_addc_u32 s1, s13, s1
	s_load_dwordx2 s[6:7], s[0:1], 0x0
	s_load_dwordx2 s[10:11], s[4:5], 0x20
	v_and_b32_e32 v96, 31, v0
	v_or_b32_e32 v98, 32, v96
	v_or_b32_e32 v97, 64, v96
	s_waitcnt lgkmcnt(0)
	v_mul_lo_u32 v3, s6, v8
	v_mul_lo_u32 v4, s7, v7
	v_mad_u64_u32 v[1:2], s[0:1], s6, v7, v[1:2]
	v_cmp_gt_u64_e32 vcc, s[10:11], v[7:8]
	v_cmp_le_u64_e64 s[0:1], s[10:11], v[7:8]
	v_add3_u32 v2, v4, v2, v3
                                        ; implicit-def: $vgpr102
                                        ; implicit-def: $vgpr101
                                        ; implicit-def: $vgpr100
                                        ; implicit-def: $vgpr99
	s_and_saveexec_b64 s[4:5], s[0:1]
	s_xor_b64 s[0:1], exec, s[4:5]
; %bb.10:
	v_or_b32_e32 v98, 32, v96
	v_or_b32_e32 v97, 64, v96
	;; [unrolled: 1-line block ×6, first 2 shown]
; %bb.11:
	s_or_saveexec_b64 s[4:5], s[0:1]
	v_lshlrev_b64 v[65:66], 4, v[1:2]
	v_lshlrev_b32_e32 v95, 4, v96
                                        ; implicit-def: $vgpr51_vgpr52
                                        ; implicit-def: $vgpr7_vgpr8
                                        ; implicit-def: $vgpr23_vgpr24
                                        ; implicit-def: $vgpr43_vgpr44
                                        ; implicit-def: $vgpr27_vgpr28
                                        ; implicit-def: $vgpr11_vgpr12
                                        ; implicit-def: $vgpr35_vgpr36
                                        ; implicit-def: $vgpr39_vgpr40
                                        ; implicit-def: $vgpr31_vgpr32
                                        ; implicit-def: $vgpr19_vgpr20
                                        ; implicit-def: $vgpr47_vgpr48
                                        ; implicit-def: $vgpr15_vgpr16
                                        ; implicit-def: $vgpr3_vgpr4
	s_xor_b64 exec, exec, s[4:5]
	s_cbranch_execz .LBB0_13
; %bb.12:
	v_mov_b32_e32 v1, s3
	v_add_co_u32_e64 v9, s[0:1], s2, v65
	v_addc_co_u32_e64 v10, s[0:1], v1, v66, s[0:1]
	v_add_co_u32_e64 v53, s[0:1], v9, v95
	v_addc_co_u32_e64 v54, s[0:1], 0, v10, s[0:1]
	v_or_b32_e32 v11, 0x1000, v95
	v_add_co_u32_e64 v55, s[0:1], v9, v11
	v_addc_co_u32_e64 v56, s[0:1], 0, v10, s[0:1]
	v_or_b32_e32 v11, 0x1200, v95
	;; [unrolled: 3-line block ×5, first 2 shown]
	v_add_co_u32_e64 v63, s[0:1], v9, v11
	global_load_dwordx4 v[1:4], v[53:54], off
	global_load_dwordx4 v[49:52], v[53:54], off offset:512
	global_load_dwordx4 v[5:8], v[53:54], off offset:1024
	;; [unrolled: 1-line block ×3, first 2 shown]
	v_addc_co_u32_e64 v64, s[0:1], 0, v10, s[0:1]
	global_load_dwordx4 v[41:44], v[53:54], off offset:2048
	global_load_dwordx4 v[25:28], v[53:54], off offset:2560
	;; [unrolled: 1-line block ×4, first 2 shown]
	global_load_dwordx4 v[33:36], v[55:56], off
	global_load_dwordx4 v[45:48], v[57:58], off
	;; [unrolled: 1-line block ×5, first 2 shown]
	v_or_b32_e32 v102, 0x60, v96
	v_or_b32_e32 v101, 0x80, v96
	;; [unrolled: 1-line block ×4, first 2 shown]
.LBB0_13:
	s_or_b64 exec, exec, s[4:5]
	s_waitcnt vmcnt(11)
	v_add_f64 v[53:54], v[49:50], v[1:2]
	v_add_f64 v[55:56], v[51:52], v[3:4]
	s_waitcnt vmcnt(0)
	v_add_f64 v[67:68], v[49:50], v[17:18]
	v_add_f64 v[61:62], v[51:52], v[19:20]
	v_add_f64 v[63:64], v[49:50], -v[17:18]
	v_add_f64 v[69:70], v[51:52], -v[19:20]
	s_mov_b32 s22, 0x42a4c3d2
	s_mov_b32 s24, 0x66966769
	v_add_f64 v[53:54], v[5:6], v[53:54]
	v_add_f64 v[55:56], v[7:8], v[55:56]
	s_mov_b32 s10, 0x2ef20147
	s_mov_b32 s18, 0x24c2f84
	s_mov_b32 s26, 0x4bc48dbf
	s_mov_b32 s15, 0xbfddbe06
	s_mov_b32 s14, 0x4267c47c
	s_mov_b32 s23, 0xbfea55e2
	v_add_f64 v[53:54], v[21:22], v[53:54]
	v_add_f64 v[55:56], v[23:24], v[55:56]
	s_mov_b32 s25, 0xbfefc445
	s_mov_b32 s11, 0xbfedeba7
	s_mov_b32 s19, 0xbfe5384d
	s_mov_b32 s27, 0xbfcea1e5
	;; [unrolled: 8-line block ×4, first 2 shown]
	v_mul_f64 v[81:82], v[63:64], s[22:23]
	v_mul_f64 v[83:84], v[63:64], s[24:25]
	v_add_f64 v[49:50], v[13:14], v[49:50]
	v_add_f64 v[51:52], v[15:16], v[51:52]
	v_mul_f64 v[85:86], v[63:64], s[10:11]
	v_mul_f64 v[87:88], v[63:64], s[18:19]
	s_mov_b32 s31, 0x3fe5384d
	s_mov_b32 s30, s18
	v_fma_f64 v[89:90], v[61:62], s[6:7], -v[81:82]
	v_fma_f64 v[81:82], v[61:62], s[6:7], v[81:82]
	v_add_f64 v[49:50], v[9:10], v[49:50]
	v_add_f64 v[51:52], v[11:12], v[51:52]
	v_fma_f64 v[91:92], v[61:62], s[0:1], -v[83:84]
	v_fma_f64 v[83:84], v[61:62], s[0:1], v[83:84]
	v_fma_f64 v[105:106], v[61:62], s[12:13], -v[85:86]
	v_fma_f64 v[107:108], v[61:62], s[12:13], v[85:86]
	;; [unrolled: 2-line block ×3, first 2 shown]
	v_add_f64 v[53:54], v[33:34], v[49:50]
	v_add_f64 v[55:56], v[35:36], v[51:52]
	;; [unrolled: 1-line block ×4, first 2 shown]
	v_add_f64 v[41:42], v[41:42], -v[45:46]
	v_add_f64 v[43:44], v[43:44], -v[47:48]
	v_add_f64 v[127:128], v[89:90], v[3:4]
	v_add_f64 v[131:132], v[81:82], v[3:4]
	;; [unrolled: 1-line block ×6, first 2 shown]
	v_add_f64 v[21:22], v[21:22], -v[37:38]
	v_add_f64 v[55:56], v[23:24], -v[39:40]
	v_add_f64 v[53:54], v[25:26], v[33:34]
	v_add_f64 v[23:24], v[27:28], v[35:36]
	;; [unrolled: 1-line block ×6, first 2 shown]
	v_add_f64 v[57:58], v[5:6], -v[29:30]
	v_add_f64 v[59:60], v[7:8], -v[31:32]
	;; [unrolled: 1-line block ×4, first 2 shown]
	v_add_f64 v[5:6], v[29:30], v[71:72]
	v_add_f64 v[7:8], v[31:32], v[73:74]
	;; [unrolled: 1-line block ×4, first 2 shown]
	v_add_f64 v[33:34], v[13:14], -v[9:10]
	v_add_f64 v[35:36], v[15:16], -v[11:12]
	v_mul_f64 v[9:10], v[69:70], s[14:15]
	v_mul_f64 v[11:12], v[69:70], s[22:23]
	v_add_f64 v[5:6], v[17:18], v[5:6]
	v_add_f64 v[7:8], v[19:20], v[7:8]
	v_mul_f64 v[13:14], v[69:70], s[24:25]
	v_mul_f64 v[15:16], v[69:70], s[10:11]
	;; [unrolled: 1-line block ×4, first 2 shown]
	v_fma_f64 v[69:70], v[67:68], s[4:5], v[9:10]
	v_fma_f64 v[9:10], v[67:68], s[4:5], -v[9:10]
	v_fma_f64 v[71:72], v[67:68], s[6:7], v[11:12]
	v_fma_f64 v[11:12], v[67:68], s[6:7], -v[11:12]
	;; [unrolled: 2-line block ×6, first 2 shown]
	v_mul_f64 v[67:68], v[63:64], s[14:15]
	v_mul_f64 v[63:64], v[63:64], s[26:27]
	v_add_f64 v[117:118], v[69:70], v[1:2]
	v_add_f64 v[121:122], v[9:10], v[1:2]
	;; [unrolled: 1-line block ×6, first 2 shown]
	v_fma_f64 v[79:80], v[61:62], s[4:5], -v[67:68]
	v_fma_f64 v[67:68], v[61:62], s[4:5], v[67:68]
	v_fma_f64 v[113:114], v[61:62], s[20:21], -v[63:64]
	v_fma_f64 v[115:116], v[61:62], s[20:21], v[63:64]
	v_add_f64 v[85:86], v[75:76], v[1:2]
	v_add_f64 v[81:82], v[15:16], v[1:2]
	;; [unrolled: 1-line block ×7, first 2 shown]
	v_mul_f64 v[1:2], v[59:60], s[22:23]
	v_add_f64 v[119:120], v[79:80], v[3:4]
	v_add_f64 v[91:92], v[91:92], v[3:4]
	;; [unrolled: 1-line block ×9, first 2 shown]
	v_fma_f64 v[3:4], v[39:40], s[6:7], v[1:2]
	v_mul_f64 v[13:14], v[57:58], s[22:23]
	v_mul_f64 v[15:16], v[55:56], s[24:25]
	;; [unrolled: 1-line block ×4, first 2 shown]
	v_fma_f64 v[1:2], v[39:40], s[6:7], -v[1:2]
	v_mul_f64 v[103:104], v[41:42], s[10:11]
	v_mul_f64 v[105:106], v[27:28], s[18:19]
	v_add_f64 v[3:4], v[3:4], v[117:118]
	v_fma_f64 v[9:10], v[37:38], s[6:7], -v[13:14]
	v_fma_f64 v[11:12], v[47:48], s[0:1], v[15:16]
	v_fma_f64 v[13:14], v[37:38], s[6:7], v[13:14]
	v_fma_f64 v[15:16], v[47:48], s[0:1], -v[15:16]
	v_add_f64 v[1:2], v[1:2], v[121:122]
	v_mul_f64 v[107:108], v[25:26], s[18:19]
	v_mul_f64 v[109:110], v[35:36], s[26:27]
	s_mov_b32 s29, 0x3fefc445
	v_add_f64 v[9:10], v[9:10], v[119:120]
	v_add_f64 v[3:4], v[11:12], v[3:4]
	v_fma_f64 v[11:12], v[45:46], s[0:1], -v[17:18]
	v_add_f64 v[13:14], v[13:14], v[123:124]
	v_add_f64 v[1:2], v[15:16], v[1:2]
	v_fma_f64 v[15:16], v[45:46], s[0:1], v[17:18]
	v_mul_f64 v[17:18], v[59:60], s[10:11]
	s_mov_b32 s28, s24
	s_mov_b32 s15, 0x3fddbe06
	;; [unrolled: 1-line block ×3, first 2 shown]
	v_add_f64 v[9:10], v[11:12], v[9:10]
	v_fma_f64 v[11:12], v[51:52], s[12:13], v[19:20]
	s_mov_b32 s34, s10
	v_add_f64 v[13:14], v[15:16], v[13:14]
	v_fma_f64 v[15:16], v[51:52], s[12:13], -v[19:20]
	v_mul_f64 v[19:20], v[57:58], s[10:11]
	v_mul_f64 v[121:122], v[35:36], s[18:19]
	;; [unrolled: 1-line block ×3, first 2 shown]
	v_and_b32_e32 v0, 32, v0
	v_add_f64 v[3:4], v[11:12], v[3:4]
	v_fma_f64 v[11:12], v[49:50], s[12:13], -v[103:104]
	v_add_f64 v[1:2], v[15:16], v[1:2]
	v_fma_f64 v[15:16], v[49:50], s[12:13], v[103:104]
	v_mul_f64 v[103:104], v[55:56], s[26:27]
	v_add_f64 v[9:10], v[11:12], v[9:10]
	v_fma_f64 v[11:12], v[53:54], s[16:17], v[105:106]
	v_add_f64 v[13:14], v[15:16], v[13:14]
	v_fma_f64 v[15:16], v[53:54], s[16:17], -v[105:106]
	v_fma_f64 v[105:106], v[47:48], s[20:21], v[103:104]
	v_fma_f64 v[103:104], v[47:48], s[20:21], -v[103:104]
	v_add_f64 v[3:4], v[11:12], v[3:4]
	v_fma_f64 v[11:12], v[23:24], s[16:17], -v[107:108]
	v_add_f64 v[1:2], v[15:16], v[1:2]
	v_fma_f64 v[15:16], v[23:24], s[16:17], v[107:108]
	v_add_f64 v[11:12], v[11:12], v[9:10]
	v_fma_f64 v[9:10], v[31:32], s[20:21], v[109:110]
	v_add_f64 v[13:14], v[15:16], v[13:14]
	v_fma_f64 v[15:16], v[31:32], s[20:21], -v[109:110]
	v_add_f64 v[9:10], v[9:10], v[3:4]
	v_mul_f64 v[3:4], v[33:34], s[26:27]
	v_add_f64 v[1:2], v[15:16], v[1:2]
	v_fma_f64 v[15:16], v[37:38], s[12:13], -v[19:20]
	v_fma_f64 v[19:20], v[37:38], s[12:13], v[19:20]
	v_fma_f64 v[111:112], v[29:30], s[20:21], -v[3:4]
	v_fma_f64 v[3:4], v[29:30], s[20:21], v[3:4]
	v_add_f64 v[15:16], v[15:16], v[127:128]
	v_add_f64 v[19:20], v[19:20], v[131:132]
	;; [unrolled: 1-line block ×4, first 2 shown]
	v_fma_f64 v[13:14], v[39:40], s[12:13], v[17:18]
	v_fma_f64 v[17:18], v[39:40], s[12:13], -v[17:18]
	v_add_f64 v[13:14], v[13:14], v[125:126]
	v_add_f64 v[17:18], v[17:18], v[129:130]
	v_add_f64 v[13:14], v[105:106], v[13:14]
	v_mul_f64 v[105:106], v[21:22], s[26:27]
	v_add_f64 v[17:18], v[103:104], v[17:18]
	v_fma_f64 v[107:108], v[45:46], s[20:21], -v[105:106]
	v_fma_f64 v[103:104], v[45:46], s[20:21], v[105:106]
	v_add_f64 v[15:16], v[107:108], v[15:16]
	v_mul_f64 v[107:108], v[43:44], s[30:31]
	v_add_f64 v[19:20], v[103:104], v[19:20]
	v_fma_f64 v[109:110], v[51:52], s[16:17], v[107:108]
	v_fma_f64 v[103:104], v[51:52], s[16:17], -v[107:108]
	v_add_f64 v[13:14], v[109:110], v[13:14]
	v_mul_f64 v[109:110], v[41:42], s[30:31]
	v_add_f64 v[17:18], v[103:104], v[17:18]
	v_fma_f64 v[111:112], v[49:50], s[16:17], -v[109:110]
	v_fma_f64 v[103:104], v[49:50], s[16:17], v[109:110]
	v_add_f64 v[15:16], v[111:112], v[15:16]
	v_mul_f64 v[111:112], v[27:28], s[28:29]
	v_add_f64 v[19:20], v[103:104], v[19:20]
	v_fma_f64 v[113:114], v[53:54], s[0:1], v[111:112]
	v_fma_f64 v[103:104], v[53:54], s[0:1], -v[111:112]
	v_add_f64 v[13:14], v[113:114], v[13:14]
	;; [unrolled: 10-line block ×3, first 2 shown]
	v_mul_f64 v[117:118], v[33:34], s[14:15]
	v_add_f64 v[17:18], v[103:104], v[17:18]
	v_mul_f64 v[103:104], v[59:60], s[26:27]
	v_fma_f64 v[105:106], v[29:30], s[4:5], v[117:118]
	v_fma_f64 v[119:120], v[29:30], s[4:5], -v[117:118]
	v_add_f64 v[19:20], v[105:106], v[19:20]
	v_fma_f64 v[105:106], v[39:40], s[20:21], v[103:104]
	v_fma_f64 v[103:104], v[39:40], s[20:21], -v[103:104]
	v_add_f64 v[15:16], v[119:120], v[15:16]
	v_add_f64 v[93:94], v[105:106], v[93:94]
	v_mul_f64 v[105:106], v[57:58], s[26:27]
	v_add_f64 v[89:90], v[103:104], v[89:90]
	s_mov_b32 s27, 0x3fcea1e5
	v_fma_f64 v[107:108], v[37:38], s[20:21], -v[105:106]
	v_fma_f64 v[103:104], v[37:38], s[20:21], v[105:106]
	v_fma_f64 v[105:106], v[29:30], s[16:17], v[123:124]
	v_add_f64 v[91:92], v[107:108], v[91:92]
	v_mul_f64 v[107:108], v[55:56], s[34:35]
	v_add_f64 v[87:88], v[103:104], v[87:88]
	v_fma_f64 v[109:110], v[47:48], s[12:13], v[107:108]
	v_fma_f64 v[103:104], v[47:48], s[12:13], -v[107:108]
	v_add_f64 v[93:94], v[109:110], v[93:94]
	v_mul_f64 v[109:110], v[21:22], s[34:35]
	v_add_f64 v[89:90], v[103:104], v[89:90]
	v_fma_f64 v[111:112], v[45:46], s[12:13], -v[109:110]
	v_fma_f64 v[103:104], v[45:46], s[12:13], v[109:110]
	v_add_f64 v[91:92], v[111:112], v[91:92]
	v_mul_f64 v[111:112], v[43:44], s[14:15]
	v_add_f64 v[87:88], v[103:104], v[87:88]
	v_fma_f64 v[113:114], v[51:52], s[4:5], v[111:112]
	v_fma_f64 v[103:104], v[51:52], s[4:5], -v[111:112]
	v_add_f64 v[93:94], v[113:114], v[93:94]
	v_mul_f64 v[113:114], v[41:42], s[14:15]
	v_add_f64 v[89:90], v[103:104], v[89:90]
	v_fma_f64 v[115:116], v[49:50], s[4:5], -v[113:114]
	v_fma_f64 v[103:104], v[49:50], s[4:5], v[113:114]
	v_add_f64 v[91:92], v[115:116], v[91:92]
	v_mul_f64 v[115:116], v[27:28], s[22:23]
	v_add_f64 v[87:88], v[103:104], v[87:88]
	v_fma_f64 v[117:118], v[53:54], s[6:7], v[115:116]
	v_fma_f64 v[103:104], v[53:54], s[6:7], -v[115:116]
	v_add_f64 v[93:94], v[117:118], v[93:94]
	v_mul_f64 v[117:118], v[25:26], s[22:23]
	v_add_f64 v[89:90], v[103:104], v[89:90]
	v_fma_f64 v[103:104], v[23:24], s[6:7], v[117:118]
	v_fma_f64 v[119:120], v[23:24], s[6:7], -v[117:118]
	v_add_f64 v[103:104], v[103:104], v[87:88]
	v_fma_f64 v[87:88], v[31:32], s[16:17], -v[121:122]
	v_add_f64 v[119:120], v[119:120], v[91:92]
	v_fma_f64 v[91:92], v[31:32], s[16:17], v[121:122]
	v_add_f64 v[87:88], v[87:88], v[89:90]
	v_add_f64 v[89:90], v[105:106], v[103:104]
	v_mul_f64 v[103:104], v[59:60], s[30:31]
	v_add_f64 v[91:92], v[91:92], v[93:94]
	v_fma_f64 v[93:94], v[29:30], s[16:17], -v[123:124]
	v_fma_f64 v[105:106], v[39:40], s[16:17], v[103:104]
	v_fma_f64 v[103:104], v[39:40], s[16:17], -v[103:104]
	v_add_f64 v[93:94], v[93:94], v[119:120]
	v_add_f64 v[85:86], v[105:106], v[85:86]
	v_mul_f64 v[105:106], v[57:58], s[30:31]
	v_add_f64 v[81:82], v[103:104], v[81:82]
	v_fma_f64 v[107:108], v[37:38], s[16:17], -v[105:106]
	v_fma_f64 v[103:104], v[37:38], s[16:17], v[105:106]
	v_add_f64 v[83:84], v[107:108], v[83:84]
	v_mul_f64 v[107:108], v[55:56], s[14:15]
	v_add_f64 v[79:80], v[103:104], v[79:80]
	v_fma_f64 v[109:110], v[47:48], s[4:5], v[107:108]
	v_fma_f64 v[103:104], v[47:48], s[4:5], -v[107:108]
	v_add_f64 v[85:86], v[109:110], v[85:86]
	v_mul_f64 v[109:110], v[21:22], s[14:15]
	v_add_f64 v[81:82], v[103:104], v[81:82]
	v_fma_f64 v[111:112], v[45:46], s[4:5], -v[109:110]
	v_fma_f64 v[103:104], v[45:46], s[4:5], v[109:110]
	v_add_f64 v[83:84], v[111:112], v[83:84]
	v_mul_f64 v[111:112], v[43:44], s[24:25]
	v_add_f64 v[79:80], v[103:104], v[79:80]
	v_fma_f64 v[113:114], v[51:52], s[0:1], v[111:112]
	v_fma_f64 v[103:104], v[51:52], s[0:1], -v[111:112]
	v_add_f64 v[85:86], v[113:114], v[85:86]
	v_mul_f64 v[113:114], v[41:42], s[24:25]
	v_add_f64 v[81:82], v[103:104], v[81:82]
	s_mov_b32 s25, 0x3fea55e2
	s_mov_b32 s24, s22
	v_mul_f64 v[121:122], v[35:36], s[24:25]
	v_mul_f64 v[123:124], v[33:34], s[24:25]
	v_fma_f64 v[115:116], v[49:50], s[0:1], -v[113:114]
	v_fma_f64 v[103:104], v[49:50], s[0:1], v[113:114]
	v_fma_f64 v[105:106], v[29:30], s[6:7], v[123:124]
	v_add_f64 v[83:84], v[115:116], v[83:84]
	v_mul_f64 v[115:116], v[27:28], s[26:27]
	v_add_f64 v[79:80], v[103:104], v[79:80]
	v_fma_f64 v[117:118], v[53:54], s[20:21], v[115:116]
	v_fma_f64 v[103:104], v[53:54], s[20:21], -v[115:116]
	v_add_f64 v[85:86], v[117:118], v[85:86]
	v_mul_f64 v[117:118], v[25:26], s[26:27]
	v_add_f64 v[81:82], v[103:104], v[81:82]
	v_fma_f64 v[103:104], v[23:24], s[20:21], v[117:118]
	v_fma_f64 v[119:120], v[23:24], s[20:21], -v[117:118]
	v_add_f64 v[103:104], v[103:104], v[79:80]
	v_fma_f64 v[79:80], v[31:32], s[6:7], -v[121:122]
	v_add_f64 v[119:120], v[119:120], v[83:84]
	v_fma_f64 v[83:84], v[31:32], s[6:7], v[121:122]
	v_mul_f64 v[121:122], v[35:36], s[10:11]
	v_add_f64 v[79:80], v[79:80], v[81:82]
	v_add_f64 v[81:82], v[105:106], v[103:104]
	v_mul_f64 v[103:104], v[59:60], s[28:29]
	v_add_f64 v[83:84], v[83:84], v[85:86]
	v_fma_f64 v[85:86], v[29:30], s[6:7], -v[123:124]
	v_mul_f64 v[123:124], v[33:34], s[10:11]
	v_mul_f64 v[59:60], v[59:60], s[14:15]
	;; [unrolled: 1-line block ×3, first 2 shown]
	v_fma_f64 v[105:106], v[39:40], s[0:1], v[103:104]
	v_fma_f64 v[103:104], v[39:40], s[0:1], -v[103:104]
	v_add_f64 v[85:86], v[85:86], v[119:120]
	v_add_f64 v[77:78], v[105:106], v[77:78]
	v_mul_f64 v[105:106], v[57:58], s[28:29]
	v_mul_f64 v[57:58], v[57:58], s[14:15]
	v_fma_f64 v[107:108], v[37:38], s[0:1], -v[105:106]
	v_add_f64 v[75:76], v[107:108], v[75:76]
	v_mul_f64 v[107:108], v[55:56], s[22:23]
	v_mul_f64 v[55:56], v[55:56], s[18:19]
	v_fma_f64 v[109:110], v[47:48], s[6:7], v[107:108]
	v_add_f64 v[77:78], v[109:110], v[77:78]
	v_mul_f64 v[109:110], v[21:22], s[22:23]
	v_mul_f64 v[21:22], v[21:22], s[18:19]
	v_fma_f64 v[111:112], v[45:46], s[6:7], -v[109:110]
	v_add_f64 v[75:76], v[111:112], v[75:76]
	v_mul_f64 v[111:112], v[43:44], s[26:27]
	v_fma_f64 v[113:114], v[51:52], s[20:21], v[111:112]
	v_add_f64 v[77:78], v[113:114], v[77:78]
	v_mul_f64 v[113:114], v[41:42], s[26:27]
	v_mul_f64 v[41:42], v[41:42], s[24:25]
	v_fma_f64 v[115:116], v[49:50], s[20:21], -v[113:114]
	v_add_f64 v[75:76], v[115:116], v[75:76]
	v_mul_f64 v[115:116], v[27:28], s[14:15]
	v_mul_f64 v[27:28], v[27:28], s[10:11]
	v_fma_f64 v[117:118], v[53:54], s[4:5], v[115:116]
	v_add_f64 v[77:78], v[117:118], v[77:78]
	v_mul_f64 v[117:118], v[25:26], s[14:15]
	v_mul_f64 v[25:26], v[25:26], s[10:11]
	v_fma_f64 v[119:120], v[23:24], s[4:5], -v[117:118]
	v_add_f64 v[119:120], v[119:120], v[75:76]
	v_fma_f64 v[75:76], v[31:32], s[12:13], v[121:122]
	v_add_f64 v[75:76], v[75:76], v[77:78]
	v_fma_f64 v[77:78], v[29:30], s[12:13], -v[123:124]
	v_add_f64 v[77:78], v[77:78], v[119:120]
	v_fma_f64 v[119:120], v[39:40], s[4:5], v[59:60]
	v_fma_f64 v[39:40], v[39:40], s[4:5], -v[59:60]
	v_fma_f64 v[59:60], v[37:38], s[0:1], v[105:106]
	v_fma_f64 v[105:106], v[37:38], s[4:5], -v[57:58]
	v_fma_f64 v[37:38], v[37:38], s[4:5], v[57:58]
	v_add_f64 v[57:58], v[103:104], v[61:62]
	v_add_f64 v[61:62], v[119:120], v[67:68]
	;; [unrolled: 1-line block ×3, first 2 shown]
	v_fma_f64 v[71:72], v[45:46], s[16:17], -v[21:22]
	v_fma_f64 v[21:22], v[45:46], s[16:17], v[21:22]
	v_add_f64 v[37:38], v[37:38], v[73:74]
	v_add_f64 v[59:60], v[59:60], v[63:64]
	;; [unrolled: 1-line block ×3, first 2 shown]
	v_fma_f64 v[67:68], v[47:48], s[6:7], -v[107:108]
	v_fma_f64 v[69:70], v[47:48], s[16:17], v[55:56]
	v_fma_f64 v[47:48], v[47:48], s[16:17], -v[55:56]
	v_fma_f64 v[55:56], v[45:46], s[6:7], v[109:110]
	v_add_f64 v[21:22], v[21:22], v[37:38]
	v_mul_f64 v[37:38], v[43:44], s[24:25]
	v_fma_f64 v[43:44], v[51:52], s[20:21], -v[111:112]
	v_add_f64 v[45:46], v[67:68], v[57:58]
	v_add_f64 v[57:58], v[69:70], v[61:62]
	;; [unrolled: 1-line block ×4, first 2 shown]
	v_fma_f64 v[61:62], v[49:50], s[6:7], -v[41:42]
	v_fma_f64 v[41:42], v[49:50], s[6:7], v[41:42]
	v_fma_f64 v[47:48], v[51:52], s[6:7], v[37:38]
	v_fma_f64 v[37:38], v[51:52], s[6:7], -v[37:38]
	v_fma_f64 v[51:52], v[49:50], s[20:21], v[113:114]
	v_add_f64 v[43:44], v[43:44], v[45:46]
	v_add_f64 v[59:60], v[71:72], v[63:64]
	s_movk_i32 s6, 0x1a0
	v_add_f64 v[21:22], v[41:42], v[21:22]
	v_fma_f64 v[41:42], v[23:24], s[4:5], v[117:118]
	v_add_f64 v[37:38], v[37:38], v[39:40]
	v_fma_f64 v[39:40], v[53:54], s[4:5], -v[115:116]
	v_add_f64 v[45:46], v[51:52], v[55:56]
	v_add_f64 v[47:48], v[47:48], v[57:58]
	;; [unrolled: 1-line block ×4, first 2 shown]
	v_fma_f64 v[43:44], v[53:54], s[12:13], v[27:28]
	v_fma_f64 v[27:28], v[53:54], s[12:13], -v[27:28]
	v_add_f64 v[41:42], v[41:42], v[45:46]
	v_fma_f64 v[45:46], v[23:24], s[12:13], -v[25:26]
	v_fma_f64 v[23:24], v[23:24], s[12:13], v[25:26]
	v_add_f64 v[25:26], v[43:44], v[47:48]
	v_add_f64 v[37:38], v[27:28], v[37:38]
	v_mul_f64 v[27:28], v[35:36], s[28:29]
	v_add_f64 v[43:44], v[45:46], v[49:50]
	v_add_f64 v[35:36], v[23:24], v[21:22]
	v_fma_f64 v[21:22], v[31:32], s[12:13], -v[121:122]
	v_fma_f64 v[23:24], v[29:30], s[12:13], v[123:124]
                                        ; implicit-def: $vgpr47_vgpr48
	v_fma_f64 v[45:46], v[31:32], s[0:1], v[27:28]
	v_fma_f64 v[31:32], v[31:32], s[0:1], -v[27:28]
	v_fma_f64 v[27:28], v[29:30], s[0:1], -v[33:34]
	v_fma_f64 v[33:34], v[29:30], s[0:1], v[33:34]
	v_mov_b32_e32 v29, 0x1a0
	v_cmp_ne_u32_e64 s[0:1], 0, v0
	v_cndmask_b32_e64 v0, 0, v29, s[0:1]
	s_movk_i32 s0, 0xd0
	v_add_f64 v[25:26], v[45:46], v[25:26]
	v_add_f64 v[29:30], v[31:32], v[37:38]
	;; [unrolled: 1-line block ×3, first 2 shown]
	v_lshl_add_u32 v37, v0, 4, 0
	v_add_f64 v[31:32], v[33:34], v[35:36]
	v_mad_u32_u24 v33, v96, s0, v37
	s_movk_i32 s0, 0xff40
	v_add_f64 v[21:22], v[21:22], v[39:40]
	v_add_f64 v[23:24], v[23:24], v[41:42]
	ds_write_b128 v33, v[5:8]
	ds_write_b128 v33, v[9:12] offset:16
	ds_write_b128 v33, v[13:16] offset:32
	;; [unrolled: 1-line block ×12, first 2 shown]
	v_lshl_add_u32 v61, v96, 4, v37
	v_mad_i32_i24 v67, v96, s0, v33
	v_lshl_add_u32 v38, v98, 4, v37
	v_lshl_add_u32 v17, v97, 4, v37
	;; [unrolled: 1-line block ×5, first 2 shown]
	s_waitcnt lgkmcnt(0)
	; wave barrier
	s_waitcnt lgkmcnt(0)
	ds_read_b128 v[5:8], v61
	ds_read_b128 v[9:12], v67 offset:3328
	ds_read_b128 v[13:16], v67 offset:3840
	;; [unrolled: 1-line block ×3, first 2 shown]
	ds_read_b128 v[17:20], v17
	ds_read_b128 v[25:28], v25
	ds_read_b128 v[29:32], v67 offset:4864
	ds_read_b128 v[33:36], v67 offset:5376
	ds_read_b128 v[57:60], v39
	ds_read_b128 v[53:56], v37
	;; [unrolled: 1-line block ×3, first 2 shown]
	ds_read_b128 v[37:40], v67 offset:5888
	v_cmp_gt_u32_e64 s[0:1], 16, v96
	v_lshlrev_b32_e32 v62, 4, v0
	s_and_saveexec_b64 s[4:5], s[0:1]
	s_cbranch_execz .LBB0_15
; %bb.14:
	v_lshlrev_b32_e32 v0, 4, v99
	v_add3_u32 v0, 0, v0, v62
	ds_read_b128 v[1:4], v0
	ds_read_b128 v[45:48], v67 offset:6400
.LBB0_15:
	s_or_b64 exec, exec, s[4:5]
	v_mul_lo_u16_e32 v0, 20, v96
	v_lshrrev_b16_e32 v0, 8, v0
	v_mul_lo_u16_e32 v49, 13, v0
	v_sub_u16_e32 v49, v96, v49
	v_mov_b32_e32 v64, 4
	s_movk_i32 s4, 0x4f
	v_lshlrev_b32_sdwa v92, v64, v49 dst_sel:DWORD dst_unused:UNUSED_PAD src0_sel:DWORD src1_sel:BYTE_0
	v_mul_lo_u16_sdwa v49, v98, s4 dst_sel:DWORD dst_unused:UNUSED_PAD src0_sel:BYTE_0 src1_sel:DWORD
	v_lshrrev_b16_e32 v93, 10, v49
	v_mul_lo_u16_e32 v49, 13, v93
	v_mul_lo_u16_sdwa v63, v97, s4 dst_sel:DWORD dst_unused:UNUSED_PAD src0_sel:BYTE_0 src1_sel:DWORD
	v_sub_u16_e32 v49, v98, v49
	v_lshrrev_b16_e32 v98, 10, v63
	v_mul_lo_u16_e32 v63, 13, v98
	v_sub_u16_e32 v63, v97, v63
	v_lshlrev_b32_sdwa v97, v64, v63 dst_sel:DWORD dst_unused:UNUSED_PAD src0_sel:DWORD src1_sel:BYTE_0
	v_mul_lo_u16_sdwa v63, v102, s4 dst_sel:DWORD dst_unused:UNUSED_PAD src0_sel:BYTE_0 src1_sel:DWORD
	v_lshrrev_b16_e32 v103, 10, v63
	v_mul_lo_u16_e32 v63, 13, v103
	v_sub_u16_e32 v63, v102, v63
	v_lshlrev_b32_sdwa v102, v64, v63 dst_sel:DWORD dst_unused:UNUSED_PAD src0_sel:DWORD src1_sel:BYTE_0
	v_mul_lo_u16_sdwa v63, v101, s4 dst_sel:DWORD dst_unused:UNUSED_PAD src0_sel:BYTE_0 src1_sel:DWORD
	;; [unrolled: 5-line block ×4, first 2 shown]
	v_lshrrev_b16_e32 v63, 10, v63
	v_mul_lo_u16_e32 v88, 13, v63
	v_lshlrev_b32_sdwa v94, v64, v49 dst_sel:DWORD dst_unused:UNUSED_PAD src0_sel:DWORD src1_sel:BYTE_0
	global_load_dwordx4 v[49:52], v92, s[8:9]
	global_load_dwordx4 v[68:71], v94, s[8:9]
	global_load_dwordx4 v[72:75], v97, s[8:9]
	global_load_dwordx4 v[76:79], v102, s[8:9]
	v_sub_u16_e32 v88, v99, v88
	global_load_dwordx4 v[80:83], v109, s[8:9]
	global_load_dwordx4 v[84:87], v111, s[8:9]
	v_lshlrev_b32_sdwa v64, v64, v88 dst_sel:DWORD dst_unused:UNUSED_PAD src0_sel:DWORD src1_sel:BYTE_0
	global_load_dwordx4 v[88:91], v64, s[8:9]
	v_mad_u32_u24 v0, v0, s6, 0
	v_mad_u32_u24 v93, v93, s6, 0
	;; [unrolled: 1-line block ×5, first 2 shown]
	v_add3_u32 v113, v0, v92, v62
	v_add3_u32 v94, v93, v94, v62
	;; [unrolled: 1-line block ×4, first 2 shown]
	s_waitcnt lgkmcnt(0)
	; wave barrier
	s_waitcnt vmcnt(6) lgkmcnt(0)
	v_mul_f64 v[92:93], v[11:12], v[51:52]
	v_mul_f64 v[51:52], v[9:10], v[51:52]
	s_waitcnt vmcnt(5)
	v_mul_f64 v[97:98], v[15:16], v[70:71]
	v_mul_f64 v[70:71], v[13:14], v[70:71]
	s_waitcnt vmcnt(3)
	;; [unrolled: 3-line block ×3, first 2 shown]
	v_mul_f64 v[103:104], v[35:36], v[82:83]
	v_mul_f64 v[82:83], v[33:34], v[82:83]
	v_mul_f64 v[99:100], v[23:24], v[74:75]
	v_mul_f64 v[74:75], v[21:22], v[74:75]
	s_waitcnt vmcnt(1)
	v_mul_f64 v[105:106], v[39:40], v[86:87]
	v_mul_f64 v[86:87], v[37:38], v[86:87]
	s_waitcnt vmcnt(0)
	v_mul_f64 v[107:108], v[47:48], v[90:91]
	v_mul_f64 v[90:91], v[45:46], v[90:91]
	v_fma_f64 v[9:10], v[9:10], v[49:50], v[92:93]
	v_fma_f64 v[11:12], v[11:12], v[49:50], -v[51:52]
	v_fma_f64 v[13:14], v[13:14], v[68:69], v[97:98]
	v_fma_f64 v[15:16], v[15:16], v[68:69], -v[70:71]
	;; [unrolled: 2-line block ×7, first 2 shown]
	v_add_f64 v[9:10], v[5:6], -v[9:10]
	v_add_f64 v[11:12], v[7:8], -v[11:12]
	;; [unrolled: 1-line block ×14, first 2 shown]
	v_fma_f64 v[5:6], v[5:6], 2.0, -v[9:10]
	v_fma_f64 v[7:8], v[7:8], 2.0, -v[11:12]
	;; [unrolled: 1-line block ×14, first 2 shown]
	v_add3_u32 v4, v112, v109, v62
	ds_write_b128 v113, v[9:12] offset:208
	ds_write_b128 v113, v[5:8]
	ds_write_b128 v94, v[21:24] offset:208
	ds_write_b128 v94, v[41:44]
	ds_write_b128 v114, v[17:20]
	ds_write_b128 v114, v[13:16] offset:208
	ds_write_b128 v115, v[49:52]
	ds_write_b128 v115, v[33:36] offset:208
	;; [unrolled: 2-line block ×3, first 2 shown]
	v_mad_u32_u24 v4, v110, s6, 0
	v_add3_u32 v4, v4, v111, v62
	ds_write_b128 v4, v[53:56]
	ds_write_b128 v4, v[45:48] offset:208
	s_and_saveexec_b64 s[4:5], s[0:1]
	s_cbranch_execz .LBB0_17
; %bb.16:
	s_movk_i32 s0, 0x1a0
	v_mad_u32_u24 v4, v63, s0, 0
	v_add3_u32 v4, v4, v64, v62
	ds_write_b128 v4, v[0:3]
	ds_write_b128 v4, v[37:40] offset:208
.LBB0_17:
	s_or_b64 exec, exec, s[4:5]
	v_cmp_gt_u32_e64 s[0:1], 26, v96
	s_waitcnt lgkmcnt(0)
	; wave barrier
	s_waitcnt lgkmcnt(0)
                                        ; implicit-def: $vgpr63_vgpr64
                                        ; implicit-def: $vgpr59_vgpr60
	s_and_saveexec_b64 s[4:5], s[0:1]
	s_cbranch_execnz .LBB0_20
; %bb.18:
	s_or_b64 exec, exec, s[4:5]
	s_and_b64 s[0:1], vcc, s[0:1]
	s_and_saveexec_b64 s[4:5], s[0:1]
	s_cbranch_execnz .LBB0_21
.LBB0_19:
	s_endpgm
.LBB0_20:
	ds_read_b128 v[5:8], v61
	ds_read_b128 v[9:12], v67 offset:416
	ds_read_b128 v[41:44], v67 offset:832
	;; [unrolled: 1-line block ×15, first 2 shown]
	s_or_b64 exec, exec, s[4:5]
	s_and_b64 s[0:1], vcc, s[0:1]
	s_and_saveexec_b64 s[4:5], s[0:1]
	s_cbranch_execz .LBB0_19
.LBB0_21:
	v_mul_u32_u24_e32 v4, 15, v96
	v_lshlrev_b32_e32 v4, 4, v4
	global_load_dwordx4 v[67:70], v4, s[8:9] offset:224
	global_load_dwordx4 v[71:74], v4, s[8:9] offset:352
	;; [unrolled: 1-line block ×12, first 2 shown]
	s_mov_b32 s0, 0x667f3bcd
	s_mov_b32 s1, 0x3fe6a09e
	;; [unrolled: 1-line block ×9, first 2 shown]
	v_add_co_u32_e32 v65, vcc, s2, v65
	s_waitcnt vmcnt(11) lgkmcnt(13)
	v_mul_f64 v[116:117], v[41:42], v[69:70]
	v_mul_f64 v[69:70], v[43:44], v[69:70]
	s_waitcnt vmcnt(10) lgkmcnt(5)
	v_mul_f64 v[118:119], v[53:54], v[73:74]
	v_mul_f64 v[73:74], v[55:56], v[73:74]
	v_fma_f64 v[116:117], v[43:44], v[67:68], -v[116:117]
	v_fma_f64 v[120:121], v[41:42], v[67:68], v[69:70]
	global_load_dwordx4 v[41:44], v4, s[8:9] offset:272
	global_load_dwordx4 v[67:70], v4, s[8:9] offset:432
	v_fma_f64 v[118:119], v[55:56], v[71:72], -v[118:119]
	v_fma_f64 v[71:72], v[53:54], v[71:72], v[73:74]
	global_load_dwordx4 v[53:56], v4, s[8:9] offset:400
	s_waitcnt vmcnt(12)
	v_mul_f64 v[73:74], v[51:52], v[77:78]
	v_mul_f64 v[77:78], v[49:50], v[77:78]
	s_mov_b32 s8, 0xa6aea964
	s_mov_b32 s9, 0xbfd87de2
	;; [unrolled: 1-line block ×3, first 2 shown]
	v_fma_f64 v[49:50], v[49:50], v[75:76], v[73:74]
	v_fma_f64 v[51:52], v[51:52], v[75:76], -v[77:78]
	s_waitcnt vmcnt(11) lgkmcnt(1)
	v_mul_f64 v[73:74], v[63:64], v[81:82]
	v_mul_f64 v[75:76], v[61:62], v[81:82]
	s_waitcnt vmcnt(10)
	v_mul_f64 v[77:78], v[21:22], v[85:86]
	v_mul_f64 v[81:82], v[23:24], v[85:86]
	s_waitcnt vmcnt(6)
	v_mul_f64 v[85:86], v[47:48], v[102:103]
	v_fma_f64 v[61:62], v[61:62], v[79:80], v[73:74]
	v_fma_f64 v[63:64], v[63:64], v[79:80], -v[75:76]
	v_mul_f64 v[79:80], v[45:46], v[102:103]
	v_fma_f64 v[23:24], v[23:24], v[83:84], -v[77:78]
	v_fma_f64 v[21:22], v[21:22], v[83:84], v[81:82]
	s_waitcnt vmcnt(3)
	v_mul_f64 v[83:84], v[35:36], v[114:115]
	v_mul_f64 v[102:103], v[33:34], v[114:115]
	v_fma_f64 v[45:46], v[45:46], v[100:101], v[85:86]
	v_mul_f64 v[73:74], v[25:26], v[93:94]
	v_mul_f64 v[75:76], v[19:20], v[89:90]
	v_fma_f64 v[47:48], v[47:48], v[100:101], -v[79:80]
	v_mul_f64 v[77:78], v[2:3], v[106:107]
	v_mul_f64 v[81:82], v[9:10], v[98:99]
	;; [unrolled: 1-line block ×3, first 2 shown]
	v_fma_f64 v[33:34], v[33:34], v[112:113], v[83:84]
	v_fma_f64 v[35:36], v[35:36], v[112:113], -v[102:103]
	v_mul_f64 v[98:99], v[11:12], v[98:99]
	v_mul_f64 v[102:103], v[31:32], v[110:111]
	v_add_f64 v[47:48], v[23:24], -v[47:48]
	v_add_f64 v[45:46], v[21:22], -v[45:46]
	v_fma_f64 v[11:12], v[11:12], v[96:97], -v[81:82]
	v_fma_f64 v[31:32], v[31:32], v[108:109], -v[79:80]
	v_fma_f64 v[9:10], v[9:10], v[96:97], v[98:99]
	v_fma_f64 v[29:30], v[29:30], v[108:109], v[102:103]
	v_fma_f64 v[23:24], v[23:24], 2.0, -v[47:48]
	v_fma_f64 v[21:22], v[21:22], 2.0, -v[45:46]
	v_add_f64 v[31:32], v[11:12], -v[31:32]
	v_add_f64 v[29:30], v[9:10], -v[29:30]
	v_fma_f64 v[11:12], v[11:12], 2.0, -v[31:32]
	v_fma_f64 v[9:10], v[9:10], 2.0, -v[29:30]
	s_waitcnt vmcnt(2)
	v_mul_f64 v[85:86], v[15:16], v[43:44]
	s_waitcnt vmcnt(1) lgkmcnt(0)
	v_mul_f64 v[100:101], v[59:60], v[69:70]
	v_mul_f64 v[69:70], v[57:58], v[69:70]
	;; [unrolled: 1-line block ×3, first 2 shown]
	s_waitcnt vmcnt(0)
	v_mul_f64 v[83:84], v[39:40], v[55:56]
	v_mul_f64 v[55:56], v[37:38], v[55:56]
	v_fma_f64 v[13:14], v[13:14], v[41:42], v[85:86]
	v_fma_f64 v[57:58], v[57:58], v[67:68], v[100:101]
	v_fma_f64 v[59:60], v[59:60], v[67:68], -v[69:70]
	v_mul_f64 v[67:68], v[17:18], v[89:90]
	v_mul_f64 v[69:70], v[0:1], v[106:107]
	;; [unrolled: 1-line block ×3, first 2 shown]
	v_fma_f64 v[27:28], v[27:28], v[91:92], -v[73:74]
	v_fma_f64 v[17:18], v[17:18], v[87:88], v[75:76]
	v_fma_f64 v[0:1], v[0:1], v[104:105], v[77:78]
	;; [unrolled: 1-line block ×3, first 2 shown]
	v_fma_f64 v[15:16], v[15:16], v[41:42], -v[43:44]
	v_fma_f64 v[39:40], v[39:40], v[53:54], -v[55:56]
	;; [unrolled: 1-line block ×4, first 2 shown]
	v_fma_f64 v[25:26], v[25:26], v[91:92], v[89:90]
	v_add_f64 v[41:42], v[116:117], -v[118:119]
	v_add_f64 v[43:44], v[49:50], -v[61:62]
	;; [unrolled: 1-line block ×14, first 2 shown]
	v_add_f64 v[67:68], v[53:54], v[55:56]
	v_add_f64 v[69:70], v[31:32], -v[37:38]
	v_add_f64 v[71:72], v[47:48], -v[57:58]
	v_add_f64 v[73:74], v[45:46], v[59:60]
	v_add_f64 v[75:76], v[29:30], v[39:40]
	;; [unrolled: 1-line block ×3, first 2 shown]
	v_fma_f64 v[79:80], v[7:8], 2.0, -v[27:28]
	v_fma_f64 v[2:3], v[19:20], 2.0, -v[2:3]
	;; [unrolled: 1-line block ×12, first 2 shown]
	v_fma_f64 v[39:40], v[61:62], s[0:1], v[63:64]
	v_fma_f64 v[43:44], v[71:72], s[0:1], v[69:70]
	;; [unrolled: 1-line block ×4, first 2 shown]
	v_add_f64 v[59:60], v[79:80], -v[2:3]
	v_add_f64 v[17:18], v[19:20], -v[7:8]
	;; [unrolled: 1-line block ×8, first 2 shown]
	v_fma_f64 v[83:84], v[27:28], 2.0, -v[63:64]
	v_fma_f64 v[0:1], v[41:42], 2.0, -v[61:62]
	;; [unrolled: 1-line block ×6, first 2 shown]
	v_fma_f64 v[39:40], v[67:68], s[4:5], v[39:40]
	v_fma_f64 v[43:44], v[73:74], s[4:5], v[43:44]
	;; [unrolled: 1-line block ×4, first 2 shown]
	v_fma_f64 v[31:32], v[31:32], 2.0, -v[69:70]
	v_fma_f64 v[6:7], v[47:48], 2.0, -v[71:72]
	v_add_f64 v[45:46], v[59:60], -v[17:18]
	v_add_f64 v[47:48], v[81:82], -v[15:16]
	v_add_f64 v[53:54], v[33:34], v[13:14]
	v_add_f64 v[61:62], v[35:36], v[51:52]
	v_fma_f64 v[71:72], v[27:28], s[4:5], v[29:30]
	v_fma_f64 v[73:74], v[2:3], s[4:5], v[41:42]
	;; [unrolled: 1-line block ×10, first 2 shown]
	v_fma_f64 v[79:80], v[79:80], 2.0, -v[59:60]
	v_fma_f64 v[91:92], v[2:3], s[4:5], v[25:26]
	v_fma_f64 v[67:68], v[27:28], s[4:5], v[67:68]
	;; [unrolled: 1-line block ×7, first 2 shown]
	v_fma_f64 v[35:36], v[57:58], 2.0, -v[35:36]
	v_fma_f64 v[57:58], v[9:10], 2.0, -v[33:34]
	;; [unrolled: 1-line block ×7, first 2 shown]
	v_fma_f64 v[25:26], v[67:68], s[10:11], v[91:92]
	v_fma_f64 v[8:9], v[67:68], s[6:7], v[27:28]
	v_add_f64 v[35:36], v[79:80], -v[35:36]
	v_add_f64 v[87:88], v[57:58], -v[15:16]
	v_fma_f64 v[14:15], v[39:40], 2.0, -v[2:3]
	v_add_f64 v[89:90], v[55:56], -v[17:18]
	v_fma_f64 v[18:19], v[45:46], 2.0, -v[6:7]
	;; [unrolled: 2-line block ×3, first 2 shown]
	v_fma_f64 v[16:17], v[61:62], 2.0, -v[4:5]
	v_fma_f64 v[63:64], v[63:64], 2.0, -v[39:40]
	;; [unrolled: 1-line block ×13, first 2 shown]
	v_fma_f64 v[10:11], v[71:72], s[12:13], v[25:26]
	v_fma_f64 v[20:21], v[73:74], 2.0, -v[8:9]
	v_add_f64 v[26:27], v[35:36], -v[87:88]
	v_fma_f64 v[32:33], v[39:40], s[8:9], v[63:64]
	v_fma_f64 v[41:42], v[37:38], s[8:9], v[69:70]
	;; [unrolled: 1-line block ×6, first 2 shown]
	v_fma_f64 v[79:80], v[79:80], 2.0, -v[35:36]
	v_fma_f64 v[81:82], v[85:86], 2.0, -v[93:94]
	;; [unrolled: 1-line block ×5, first 2 shown]
	v_fma_f64 v[34:35], v[37:38], s[12:13], v[32:33]
	v_fma_f64 v[32:33], v[39:40], s[6:7], v[41:42]
	;; [unrolled: 1-line block ×6, first 2 shown]
	v_add_f64 v[46:47], v[79:80], -v[81:82]
	v_add_f64 v[44:45], v[83:84], -v[54:55]
	v_add_f64 v[24:25], v[89:90], v[93:94]
	v_fma_f64 v[50:51], v[63:64], 2.0, -v[34:35]
	v_fma_f64 v[54:55], v[59:60], 2.0, -v[38:39]
	;; [unrolled: 1-line block ×9, first 2 shown]
	v_mov_b32_e32 v64, s3
	v_fma_f64 v[22:23], v[91:92], 2.0, -v[10:11]
	v_addc_co_u32_e32 v66, vcc, v64, v66, vcc
	v_add_co_u32_e32 v64, vcc, v65, v95
	v_addc_co_u32_e32 v65, vcc, 0, v66, vcc
	s_movk_i32 s0, 0x1000
	global_store_dwordx4 v[64:65], v[60:63], off
	global_store_dwordx4 v[64:65], v[56:59], off offset:416
	global_store_dwordx4 v[64:65], v[52:55], off offset:832
	;; [unrolled: 1-line block ×9, first 2 shown]
	v_add_co_u32_e32 v12, vcc, s0, v64
	v_addc_co_u32_e32 v13, vcc, 0, v65, vcc
	global_store_dwordx4 v[12:13], v[36:39], off offset:64
	global_store_dwordx4 v[12:13], v[32:35], off offset:480
	;; [unrolled: 1-line block ×6, first 2 shown]
	s_endpgm
	.section	.rodata,"a",@progbits
	.p2align	6, 0x0
	.amdhsa_kernel fft_rtc_back_len416_factors_13_2_16_wgs_64_tpt_32_dp_ip_CI_unitstride_sbrr_dirReg
		.amdhsa_group_segment_fixed_size 0
		.amdhsa_private_segment_fixed_size 0
		.amdhsa_kernarg_size 88
		.amdhsa_user_sgpr_count 6
		.amdhsa_user_sgpr_private_segment_buffer 1
		.amdhsa_user_sgpr_dispatch_ptr 0
		.amdhsa_user_sgpr_queue_ptr 0
		.amdhsa_user_sgpr_kernarg_segment_ptr 1
		.amdhsa_user_sgpr_dispatch_id 0
		.amdhsa_user_sgpr_flat_scratch_init 0
		.amdhsa_user_sgpr_private_segment_size 0
		.amdhsa_uses_dynamic_stack 0
		.amdhsa_system_sgpr_private_segment_wavefront_offset 0
		.amdhsa_system_sgpr_workgroup_id_x 1
		.amdhsa_system_sgpr_workgroup_id_y 0
		.amdhsa_system_sgpr_workgroup_id_z 0
		.amdhsa_system_sgpr_workgroup_info 0
		.amdhsa_system_vgpr_workitem_id 0
		.amdhsa_next_free_vgpr 133
		.amdhsa_next_free_sgpr 36
		.amdhsa_reserve_vcc 1
		.amdhsa_reserve_flat_scratch 0
		.amdhsa_float_round_mode_32 0
		.amdhsa_float_round_mode_16_64 0
		.amdhsa_float_denorm_mode_32 3
		.amdhsa_float_denorm_mode_16_64 3
		.amdhsa_dx10_clamp 1
		.amdhsa_ieee_mode 1
		.amdhsa_fp16_overflow 0
		.amdhsa_exception_fp_ieee_invalid_op 0
		.amdhsa_exception_fp_denorm_src 0
		.amdhsa_exception_fp_ieee_div_zero 0
		.amdhsa_exception_fp_ieee_overflow 0
		.amdhsa_exception_fp_ieee_underflow 0
		.amdhsa_exception_fp_ieee_inexact 0
		.amdhsa_exception_int_div_zero 0
	.end_amdhsa_kernel
	.text
.Lfunc_end0:
	.size	fft_rtc_back_len416_factors_13_2_16_wgs_64_tpt_32_dp_ip_CI_unitstride_sbrr_dirReg, .Lfunc_end0-fft_rtc_back_len416_factors_13_2_16_wgs_64_tpt_32_dp_ip_CI_unitstride_sbrr_dirReg
                                        ; -- End function
	.section	.AMDGPU.csdata,"",@progbits
; Kernel info:
; codeLenInByte = 8604
; NumSgprs: 40
; NumVgprs: 133
; ScratchSize: 0
; MemoryBound: 1
; FloatMode: 240
; IeeeMode: 1
; LDSByteSize: 0 bytes/workgroup (compile time only)
; SGPRBlocks: 4
; VGPRBlocks: 33
; NumSGPRsForWavesPerEU: 40
; NumVGPRsForWavesPerEU: 133
; Occupancy: 1
; WaveLimiterHint : 1
; COMPUTE_PGM_RSRC2:SCRATCH_EN: 0
; COMPUTE_PGM_RSRC2:USER_SGPR: 6
; COMPUTE_PGM_RSRC2:TRAP_HANDLER: 0
; COMPUTE_PGM_RSRC2:TGID_X_EN: 1
; COMPUTE_PGM_RSRC2:TGID_Y_EN: 0
; COMPUTE_PGM_RSRC2:TGID_Z_EN: 0
; COMPUTE_PGM_RSRC2:TIDIG_COMP_CNT: 0
	.type	__hip_cuid_4d5c9b5797aec2,@object ; @__hip_cuid_4d5c9b5797aec2
	.section	.bss,"aw",@nobits
	.globl	__hip_cuid_4d5c9b5797aec2
__hip_cuid_4d5c9b5797aec2:
	.byte	0                               ; 0x0
	.size	__hip_cuid_4d5c9b5797aec2, 1

	.ident	"AMD clang version 19.0.0git (https://github.com/RadeonOpenCompute/llvm-project roc-6.4.0 25133 c7fe45cf4b819c5991fe208aaa96edf142730f1d)"
	.section	".note.GNU-stack","",@progbits
	.addrsig
	.addrsig_sym __hip_cuid_4d5c9b5797aec2
	.amdgpu_metadata
---
amdhsa.kernels:
  - .args:
      - .actual_access:  read_only
        .address_space:  global
        .offset:         0
        .size:           8
        .value_kind:     global_buffer
      - .offset:         8
        .size:           8
        .value_kind:     by_value
      - .actual_access:  read_only
        .address_space:  global
        .offset:         16
        .size:           8
        .value_kind:     global_buffer
      - .actual_access:  read_only
        .address_space:  global
        .offset:         24
        .size:           8
        .value_kind:     global_buffer
      - .offset:         32
        .size:           8
        .value_kind:     by_value
      - .actual_access:  read_only
        .address_space:  global
        .offset:         40
        .size:           8
        .value_kind:     global_buffer
      - .actual_access:  read_only
        .address_space:  global
        .offset:         48
        .size:           8
        .value_kind:     global_buffer
      - .offset:         56
        .size:           4
        .value_kind:     by_value
      - .actual_access:  read_only
        .address_space:  global
        .offset:         64
        .size:           8
        .value_kind:     global_buffer
      - .actual_access:  read_only
        .address_space:  global
        .offset:         72
        .size:           8
        .value_kind:     global_buffer
      - .address_space:  global
        .offset:         80
        .size:           8
        .value_kind:     global_buffer
    .group_segment_fixed_size: 0
    .kernarg_segment_align: 8
    .kernarg_segment_size: 88
    .language:       OpenCL C
    .language_version:
      - 2
      - 0
    .max_flat_workgroup_size: 64
    .name:           fft_rtc_back_len416_factors_13_2_16_wgs_64_tpt_32_dp_ip_CI_unitstride_sbrr_dirReg
    .private_segment_fixed_size: 0
    .sgpr_count:     40
    .sgpr_spill_count: 0
    .symbol:         fft_rtc_back_len416_factors_13_2_16_wgs_64_tpt_32_dp_ip_CI_unitstride_sbrr_dirReg.kd
    .uniform_work_group_size: 1
    .uses_dynamic_stack: false
    .vgpr_count:     133
    .vgpr_spill_count: 0
    .wavefront_size: 64
amdhsa.target:   amdgcn-amd-amdhsa--gfx906
amdhsa.version:
  - 1
  - 2
...

	.end_amdgpu_metadata
